;; amdgpu-corpus repo=ROCm/rocm-examples kind=compiled arch=gfx1250 opt=O3
	.amdgcn_target "amdgcn-amd-amdhsa--gfx1250"
	.amdhsa_code_object_version 6
	.text
	.protected	_Z18add_half_precisionP6__halfS0_Pfm ; -- Begin function _Z18add_half_precisionP6__halfS0_Pfm
	.globl	_Z18add_half_precisionP6__halfS0_Pfm
	.p2align	8
	.type	_Z18add_half_precisionP6__halfS0_Pfm,@function
_Z18add_half_precisionP6__halfS0_Pfm:   ; @_Z18add_half_precisionP6__halfS0_Pfm
; %bb.0:
	s_load_b256 s[4:11], s[0:1], 0x0
	v_mov_b32_e32 v1, 0
	s_wait_xcnt 0x0
	s_mov_b32 s0, exec_lo
	s_wait_kmcnt 0x0
	s_delay_alu instid0(VALU_DEP_1)
	v_cmpx_gt_u64_e64 s[10:11], v[0:1]
	s_cbranch_execz .LBB0_2
; %bb.1:
	s_clause 0x1
	global_load_u16 v1, v0, s[4:5] scale_offset
	global_load_u16 v2, v0, s[6:7] scale_offset
	s_wait_loadcnt 0x0
	v_add_f16_e32 v1, v1, v2
	s_delay_alu instid0(VALU_DEP_1)
	v_cvt_f32_f16_e32 v1, v1
	global_store_b32 v0, v1, s[8:9] scale_offset
.LBB0_2:
	s_endpgm
	.section	.rodata,"a",@progbits
	.p2align	6, 0x0
	.amdhsa_kernel _Z18add_half_precisionP6__halfS0_Pfm
		.amdhsa_group_segment_fixed_size 0
		.amdhsa_private_segment_fixed_size 0
		.amdhsa_kernarg_size 32
		.amdhsa_user_sgpr_count 2
		.amdhsa_user_sgpr_dispatch_ptr 0
		.amdhsa_user_sgpr_queue_ptr 0
		.amdhsa_user_sgpr_kernarg_segment_ptr 1
		.amdhsa_user_sgpr_dispatch_id 0
		.amdhsa_user_sgpr_kernarg_preload_length 0
		.amdhsa_user_sgpr_kernarg_preload_offset 0
		.amdhsa_user_sgpr_private_segment_size 0
		.amdhsa_wavefront_size32 1
		.amdhsa_uses_dynamic_stack 0
		.amdhsa_enable_private_segment 0
		.amdhsa_system_sgpr_workgroup_id_x 1
		.amdhsa_system_sgpr_workgroup_id_y 0
		.amdhsa_system_sgpr_workgroup_id_z 0
		.amdhsa_system_sgpr_workgroup_info 0
		.amdhsa_system_vgpr_workitem_id 0
		.amdhsa_next_free_vgpr 3
		.amdhsa_next_free_sgpr 12
		.amdhsa_named_barrier_count 0
		.amdhsa_reserve_vcc 0
		.amdhsa_float_round_mode_32 0
		.amdhsa_float_round_mode_16_64 0
		.amdhsa_float_denorm_mode_32 3
		.amdhsa_float_denorm_mode_16_64 3
		.amdhsa_fp16_overflow 0
		.amdhsa_memory_ordered 1
		.amdhsa_forward_progress 1
		.amdhsa_inst_pref_size 1
		.amdhsa_round_robin_scheduling 0
		.amdhsa_exception_fp_ieee_invalid_op 0
		.amdhsa_exception_fp_denorm_src 0
		.amdhsa_exception_fp_ieee_div_zero 0
		.amdhsa_exception_fp_ieee_overflow 0
		.amdhsa_exception_fp_ieee_underflow 0
		.amdhsa_exception_fp_ieee_inexact 0
		.amdhsa_exception_int_div_zero 0
	.end_amdhsa_kernel
	.text
.Lfunc_end0:
	.size	_Z18add_half_precisionP6__halfS0_Pfm, .Lfunc_end0-_Z18add_half_precisionP6__halfS0_Pfm
                                        ; -- End function
	.set _Z18add_half_precisionP6__halfS0_Pfm.num_vgpr, 3
	.set _Z18add_half_precisionP6__halfS0_Pfm.num_agpr, 0
	.set _Z18add_half_precisionP6__halfS0_Pfm.numbered_sgpr, 12
	.set _Z18add_half_precisionP6__halfS0_Pfm.num_named_barrier, 0
	.set _Z18add_half_precisionP6__halfS0_Pfm.private_seg_size, 0
	.set _Z18add_half_precisionP6__halfS0_Pfm.uses_vcc, 0
	.set _Z18add_half_precisionP6__halfS0_Pfm.uses_flat_scratch, 0
	.set _Z18add_half_precisionP6__halfS0_Pfm.has_dyn_sized_stack, 0
	.set _Z18add_half_precisionP6__halfS0_Pfm.has_recursion, 0
	.set _Z18add_half_precisionP6__halfS0_Pfm.has_indirect_call, 0
	.section	.AMDGPU.csdata,"",@progbits
; Kernel info:
; codeLenInByte = 100
; TotalNumSgprs: 12
; NumVgprs: 3
; ScratchSize: 0
; MemoryBound: 0
; FloatMode: 240
; IeeeMode: 1
; LDSByteSize: 0 bytes/workgroup (compile time only)
; SGPRBlocks: 0
; VGPRBlocks: 0
; NumSGPRsForWavesPerEU: 12
; NumVGPRsForWavesPerEU: 3
; NamedBarCnt: 0
; Occupancy: 16
; WaveLimiterHint : 0
; COMPUTE_PGM_RSRC2:SCRATCH_EN: 0
; COMPUTE_PGM_RSRC2:USER_SGPR: 2
; COMPUTE_PGM_RSRC2:TRAP_HANDLER: 0
; COMPUTE_PGM_RSRC2:TGID_X_EN: 1
; COMPUTE_PGM_RSRC2:TGID_Y_EN: 0
; COMPUTE_PGM_RSRC2:TGID_Z_EN: 0
; COMPUTE_PGM_RSRC2:TIDIG_COMP_CNT: 0
	.text
	.p2alignl 7, 3214868480
	.fill 96, 4, 3214868480
	.section	.AMDGPU.gpr_maximums,"",@progbits
	.set amdgpu.max_num_vgpr, 0
	.set amdgpu.max_num_agpr, 0
	.set amdgpu.max_num_sgpr, 0
	.text
	.type	__hip_cuid_10d00d863724aa1f,@object ; @__hip_cuid_10d00d863724aa1f
	.section	.bss,"aw",@nobits
	.globl	__hip_cuid_10d00d863724aa1f
__hip_cuid_10d00d863724aa1f:
	.byte	0                               ; 0x0
	.size	__hip_cuid_10d00d863724aa1f, 1

	.ident	"AMD clang version 22.0.0git (https://github.com/RadeonOpenCompute/llvm-project roc-7.2.4 26084 f58b06dce1f9c15707c5f808fd002e18c2accf7e)"
	.section	".note.GNU-stack","",@progbits
	.addrsig
	.addrsig_sym __hip_cuid_10d00d863724aa1f
	.amdgpu_metadata
---
amdhsa.kernels:
  - .args:
      - .address_space:  global
        .offset:         0
        .size:           8
        .value_kind:     global_buffer
      - .address_space:  global
        .offset:         8
        .size:           8
        .value_kind:     global_buffer
      - .address_space:  global
        .offset:         16
        .size:           8
        .value_kind:     global_buffer
      - .offset:         24
        .size:           8
        .value_kind:     by_value
    .group_segment_fixed_size: 0
    .kernarg_segment_align: 8
    .kernarg_segment_size: 32
    .language:       OpenCL C
    .language_version:
      - 2
      - 0
    .max_flat_workgroup_size: 1024
    .name:           _Z18add_half_precisionP6__halfS0_Pfm
    .private_segment_fixed_size: 0
    .sgpr_count:     12
    .sgpr_spill_count: 0
    .symbol:         _Z18add_half_precisionP6__halfS0_Pfm.kd
    .uniform_work_group_size: 1
    .uses_dynamic_stack: false
    .vgpr_count:     3
    .vgpr_spill_count: 0
    .wavefront_size: 32
amdhsa.target:   amdgcn-amd-amdhsa--gfx1250
amdhsa.version:
  - 1
  - 2
...

	.end_amdgpu_metadata
